;; amdgpu-corpus repo=ROCm/rocFFT kind=compiled arch=gfx950 opt=O3
	.text
	.amdgcn_target "amdgcn-amd-amdhsa--gfx950"
	.amdhsa_code_object_version 6
	.protected	fft_rtc_back_len121_factors_11_11_wgs_121_tpt_11_sp_op_CI_CI_sbrc_z_xy_diag ; -- Begin function fft_rtc_back_len121_factors_11_11_wgs_121_tpt_11_sp_op_CI_CI_sbrc_z_xy_diag
	.globl	fft_rtc_back_len121_factors_11_11_wgs_121_tpt_11_sp_op_CI_CI_sbrc_z_xy_diag
	.p2align	8
	.type	fft_rtc_back_len121_factors_11_11_wgs_121_tpt_11_sp_op_CI_CI_sbrc_z_xy_diag,@function
fft_rtc_back_len121_factors_11_11_wgs_121_tpt_11_sp_op_CI_CI_sbrc_z_xy_diag: ; @fft_rtc_back_len121_factors_11_11_wgs_121_tpt_11_sp_op_CI_CI_sbrc_z_xy_diag
; %bb.0:
	s_load_dwordx8 s[4:11], s[0:1], 0x0
	s_mov_b32 s34, 0xbf68dda4
	s_mov_b32 s26, 0xbe903f40
	;; [unrolled: 1-line block ×4, first 2 shown]
	s_waitcnt lgkmcnt(0)
	s_load_dwordx4 s[12:15], s[8:9], 0x8
	s_mov_b32 s30, 0x3f68dda4
	s_waitcnt lgkmcnt(0)
	s_add_i32 s3, s12, -1
	s_mul_hi_u32 s3, s3, 0xba2e8ba3
	s_lshr_b32 s3, s3, 3
	s_add_i32 s3, s3, 1
	s_mul_i32 s3, s3, s14
	v_cvt_f32_u32_e32 v1, s3
	s_load_dwordx2 s[8:9], s[0:1], 0x20
	s_load_dwordx4 s[12:15], s[0:1], 0x58
	s_load_dwordx4 s[20:23], s[10:11], 0x0
	s_load_dword s24, s[10:11], 0x10
	s_sub_i32 s0, 0, s3
	s_waitcnt lgkmcnt(0)
	s_load_dwordx4 s[16:19], s[8:9], 0x0
	v_rcp_iflag_f32_e32 v1, v1
	s_waitcnt lgkmcnt(0)
	s_load_dword s19, s[8:9], 0x10
	v_mul_f32_e32 v1, 0x4f7ffffe, v1
	v_cvt_u32_f32_e32 v1, v1
	s_nop 0
	v_readfirstlane_b32 s1, v1
	s_mul_i32 s0, s0, s1
	s_mul_hi_u32 s0, s1, s0
	s_add_i32 s1, s1, s0
	s_mul_hi_u32 s0, s2, s1
	s_mul_i32 s1, s0, s3
	s_sub_i32 s1, s2, s1
	s_add_i32 s23, s0, 1
	s_sub_i32 s25, s1, s3
	s_cmp_ge_u32 s1, s3
	s_cselect_b32 s0, s23, s0
	s_cselect_b32 s1, s25, s1
	s_add_i32 s23, s0, 1
	s_cmp_ge_u32 s1, s3
	s_cselect_b32 s23, s23, s0
	s_mul_i32 s0, s23, s3
	s_sub_i32 s0, s2, s0
	s_mul_hi_u32 s1, s0, 0xba2e8ba3
	s_lshr_b32 s1, s1, 3
	s_mul_i32 s2, s1, 11
	s_sub_i32 s25, s0, s2
	s_add_i32 s0, s1, s25
	s_mul_i32 s25, s25, 11
	s_mul_hi_u32 s2, s0, 0xecf56bf
	s_lshl_b64 s[28:29], s[6:7], 3
	s_mul_i32 s1, s17, s25
	s_mul_hi_u32 s6, s16, s25
	s_sub_i32 s7, s0, s2
	s_add_i32 s1, s6, s1
	s_lshr_b32 s6, s7, 1
	s_add_i32 s6, s6, s2
	s_lshr_b32 s2, s6, 6
	s_mulk_i32 s2, 0x79
	s_sub_i32 s27, s0, s2
	s_mul_i32 s3, s25, s22
	s_mul_i32 s0, s27, s24
	s_add_i32 s6, s0, s3
	s_add_u32 s2, s10, s28
	s_addc_u32 s3, s11, s29
	s_load_dwordx2 s[10:11], s[2:3], 0x0
	v_mul_u32_u24_e32 v1, 0x21e, v0
	v_lshrrev_b32_e32 v1, 16, v1
	v_mul_lo_u16_e32 v2, 0x79, v1
	v_sub_u16_e32 v34, v0, v2
	s_waitcnt lgkmcnt(0)
	s_mul_i32 s0, s11, s23
	s_mul_hi_u32 s2, s10, s23
	s_add_i32 s11, s2, s0
	s_add_u32 s2, s8, s28
	s_addc_u32 s3, s9, s29
	s_load_dwordx2 s[2:3], s[2:3], 0x0
	v_mad_u64_u32 v[4:5], s[8:9], s20, v34, 0
	v_mov_b32_e32 v2, v5
	s_mul_i32 s10, s10, s23
	s_waitcnt lgkmcnt(0)
	s_mul_i32 s0, s3, s23
	s_mul_hi_u32 s3, s2, s23
	v_mad_u64_u32 v[2:3], s[8:9], s21, v34, v[2:3]
	s_add_i32 s3, s3, s0
	s_lshl_b64 s[8:9], s[10:11], 3
	s_mov_b32 s7, 0
	s_add_u32 s0, s12, s8
	s_addc_u32 s10, s13, s9
	s_lshl_b64 s[8:9], s[6:7], 3
	s_add_u32 s8, s0, s8
	v_mov_b32_e32 v5, v2
	s_addc_u32 s9, s10, s9
	v_mul_lo_u32 v2, s22, v1
	v_mov_b32_e32 v3, 0
	v_lshl_add_u64 v[4:5], v[4:5], 3, s[8:9]
	v_lshl_add_u64 v[6:7], v[2:3], 3, v[4:5]
	v_add_u32_e32 v2, s22, v2
	v_lshl_add_u64 v[8:9], v[2:3], 3, v[4:5]
	v_add_u32_e32 v2, s22, v2
	;; [unrolled: 2-line block ×4, first 2 shown]
	global_load_dwordx2 v[14:15], v[6:7], off
	global_load_dwordx2 v[16:17], v[8:9], off
	;; [unrolled: 1-line block ×4, first 2 shown]
	v_lshl_add_u64 v[6:7], v[2:3], 3, v[4:5]
	v_add_u32_e32 v2, s22, v2
	v_lshl_add_u64 v[8:9], v[2:3], 3, v[4:5]
	v_add_u32_e32 v2, s22, v2
	;; [unrolled: 2-line block ×4, first 2 shown]
	global_load_dwordx2 v[24:25], v[6:7], off
	global_load_dwordx2 v[26:27], v[8:9], off
	;; [unrolled: 1-line block ×4, first 2 shown]
	v_lshl_add_u64 v[6:7], v[2:3], 3, v[4:5]
	v_add_u32_e32 v2, s22, v2
	v_lshl_add_u64 v[8:9], v[2:3], 3, v[4:5]
	v_add_u32_e32 v2, s22, v2
	v_lshl_add_u64 v[4:5], v[2:3], 3, v[4:5]
	global_load_dwordx2 v[10:11], v[6:7], off
	global_load_dwordx2 v[12:13], v[8:9], off
	;; [unrolled: 1-line block ×3, first 2 shown]
	v_mul_u32_u24_e32 v2, 0x1746, v0
	v_lshrrev_b32_e32 v20, 16, v2
	s_movk_i32 s9, 0x75
	v_add_u32_e32 v7, s25, v20
	v_mul_lo_u16_sdwa v8, v7, s9 dst_sel:DWORD dst_unused:UNUSED_PAD src0_sel:BYTE_0 src1_sel:DWORD
	v_sub_u16_sdwa v9, v7, v8 dst_sel:DWORD dst_unused:UNUSED_PAD src0_sel:DWORD src1_sel:BYTE_1
	v_lshrrev_b16_e32 v9, 1, v9
	v_and_b32_e32 v9, 0x7f, v9
	v_add_u16_sdwa v8, v9, v8 dst_sel:DWORD dst_unused:UNUSED_PAD src0_sel:DWORD src1_sel:BYTE_1
	v_lshrrev_b16_e32 v8, 3, v8
	v_mul_lo_u16_e32 v8, 11, v8
	s_movk_i32 s8, 0x79
	v_mul_lo_u16_e32 v2, 11, v20
	v_sub_u16_e32 v7, v7, v8
	v_mul_u32_u24_e32 v1, 0x3c8, v1
	v_sub_u16_e32 v21, v0, v2
	v_lshlrev_b32_e32 v0, 3, v34
	v_mul_u32_u24_sdwa v7, v7, s8 dst_sel:DWORD dst_unused:UNUSED_PAD src0_sel:BYTE_0 src1_sel:DWORD
	v_lshlrev_b32_e32 v2, 3, v21
	v_add3_u32 v0, 0, v1, v0
	v_lshlrev_b32_e32 v7, 3, v7
	v_add_u32_e32 v1, 0x400, v0
	v_add_u32_e32 v6, 0x1c00, v0
	v_add3_u32 v112, 0, v7, v2
	v_add_u32_e32 v4, 0xc00, v0
	v_add_u32_e32 v5, 0x1400, v0
	v_add3_u32 v2, 0, v2, v7
	s_mov_b32 s6, 0xbf0a6770
	s_mov_b32 s0, 0x3f575c64
	;; [unrolled: 1-line block ×3, first 2 shown]
	s_movk_i32 s10, 0x50
	s_mov_b32 s12, 0xbf7d64f0
	v_mad_u32_u24 v113, v21, s10, v2
	s_mov_b32 s10, 0xbe11bafb
	s_mov_b32 s22, 0xbf4178ce
	;; [unrolled: 1-line block ×5, first 2 shown]
	s_mul_i32 s2, s2, s23
	s_lshl_b64 s[2:3], s[2:3], 3
	s_add_u32 s2, s14, s2
	s_addc_u32 s3, s15, s3
	s_waitcnt vmcnt(9)
	ds_write2_b64 v0, v[14:15], v[16:17] offset1:121
	s_waitcnt vmcnt(7)
	ds_write2_b64 v1, v[18:19], v[22:23] offset0:114 offset1:235
	s_waitcnt vmcnt(5)
	ds_write2_b64 v4, v[24:25], v[26:27] offset0:100 offset1:221
	;; [unrolled: 2-line block ×4, first 2 shown]
	s_waitcnt vmcnt(0)
	ds_write_b64 v0, v[32:33] offset:9680
	s_waitcnt lgkmcnt(0)
	s_barrier
	ds_read_b64 v[0:1], v112
	ds_read2_b64 v[6:9], v2 offset0:11 offset1:22
	ds_read2_b64 v[14:17], v2 offset0:33 offset1:44
	;; [unrolled: 1-line block ×5, first 2 shown]
	s_waitcnt lgkmcnt(4)
	v_pk_add_f32 v[4:5], v[0:1], v[6:7]
	s_waitcnt lgkmcnt(0)
	v_pk_add_f32 v[4:5], v[4:5], v[8:9]
	v_pk_add_f32 v[40:41], v[28:29], v[14:15]
	;; [unrolled: 1-line block ×3, first 2 shown]
	v_pk_add_f32 v[32:33], v[6:7], v[12:13] neg_lo:[0,1] neg_hi:[0,1]
	v_pk_add_f32 v[18:19], v[18:19], v[16:17]
	v_pk_add_f32 v[30:31], v[12:13], v[6:7]
	;; [unrolled: 1-line block ×3, first 2 shown]
	v_pk_mul_f32 v[6:7], v[32:33], s[6:7] op_sel_hi:[1,0]
	v_pk_add_f32 v[18:19], v[18:19], v[24:25]
	v_pk_add_f32 v[38:39], v[8:9], v[10:11] neg_lo:[0,1] neg_hi:[0,1]
	v_pk_add_f32 v[18:19], v[18:19], v[26:27]
	v_pk_fma_f32 v[4:5], v[30:31], s[0:1], v[6:7] op_sel:[0,0,1] op_sel_hi:[1,0,0]
	v_pk_add_f32 v[18:19], v[18:19], v[28:29]
	v_pk_fma_f32 v[6:7], v[30:31], s[0:1], v[6:7] op_sel:[0,0,1] op_sel_hi:[1,0,0] neg_lo:[0,0,1] neg_hi:[0,0,1]
	v_pk_add_f32 v[18:19], v[18:19], v[10:11]
	v_pk_add_f32 v[36:37], v[10:11], v[8:9]
	v_pk_mul_f32 v[10:11], v[38:39], s[34:35] op_sel_hi:[1,0]
	v_pk_add_f32 v[34:35], v[18:19], v[12:13]
	v_mov_b32_e32 v12, v4
	v_mov_b32_e32 v13, v7
	v_pk_fma_f32 v[8:9], v[36:37], s[8:9], v[10:11] op_sel:[0,0,1] op_sel_hi:[1,0,0]
	v_pk_fma_f32 v[10:11], v[36:37], s[8:9], v[10:11] op_sel:[0,0,1] op_sel_hi:[1,0,0] neg_lo:[0,0,1] neg_hi:[0,0,1]
	v_pk_add_f32 v[28:29], v[14:15], v[28:29] neg_lo:[0,1] neg_hi:[0,1]
	v_pk_add_f32 v[12:13], v[0:1], v[12:13]
	v_mov_b32_e32 v18, v8
	v_mov_b32_e32 v19, v11
	v_pk_mul_f32 v[14:15], v[28:29], s[12:13] op_sel_hi:[1,0]
	v_pk_add_f32 v[18:19], v[18:19], v[12:13]
	v_pk_fma_f32 v[12:13], v[40:41], s[10:11], v[14:15] op_sel:[0,0,1] op_sel_hi:[1,0,0]
	v_pk_fma_f32 v[14:15], v[40:41], s[10:11], v[14:15] op_sel:[0,0,1] op_sel_hi:[1,0,0] neg_lo:[0,0,1] neg_hi:[0,0,1]
	v_mov_b32_e32 v42, v12
	v_mov_b32_e32 v43, v15
	v_pk_add_f32 v[44:45], v[26:27], v[16:17]
	v_pk_add_f32 v[26:27], v[16:17], v[26:27] neg_lo:[0,1] neg_hi:[0,1]
	v_pk_add_f32 v[42:43], v[42:43], v[18:19]
	v_pk_mul_f32 v[18:19], v[26:27], s[22:23] op_sel_hi:[1,0]
	s_barrier
	v_pk_fma_f32 v[16:17], v[44:45], s[20:21], v[18:19] op_sel:[0,0,1] op_sel_hi:[1,0,0]
	v_pk_fma_f32 v[18:19], v[44:45], s[20:21], v[18:19] op_sel:[0,0,1] op_sel_hi:[1,0,0] neg_lo:[0,0,1] neg_hi:[0,0,1]
	v_mov_b32_e32 v46, v16
	v_mov_b32_e32 v47, v19
	v_pk_add_f32 v[42:43], v[46:47], v[42:43]
	v_pk_add_f32 v[46:47], v[24:25], v[22:23]
	v_pk_add_f32 v[22:23], v[22:23], v[24:25] neg_lo:[0,1] neg_hi:[0,1]
	s_nop 0
	v_pk_mul_f32 v[24:25], v[22:23], s[26:27] op_sel_hi:[1,0]
	v_pk_mul_f32 v[52:53], v[38:39], s[22:23] op_sel_hi:[1,0]
	v_pk_fma_f32 v[48:49], v[46:47], s[24:25], v[24:25] op_sel:[0,0,1] op_sel_hi:[1,0,0]
	v_pk_fma_f32 v[24:25], v[46:47], s[24:25], v[24:25] op_sel:[0,0,1] op_sel_hi:[1,0,0] neg_lo:[0,0,1] neg_hi:[0,0,1]
	v_mov_b32_e32 v50, v48
	v_mov_b32_e32 v51, v25
	v_pk_add_f32 v[42:43], v[50:51], v[42:43]
	ds_write2_b64 v113, v[34:35], v[42:43] offset1:1
	v_pk_mul_f32 v[34:35], v[32:33], s[34:35] op_sel_hi:[1,0]
	v_pk_fma_f32 v[54:55], v[36:37], s[20:21], v[52:53] op_sel:[0,0,1] op_sel_hi:[1,0,0]
	v_pk_fma_f32 v[42:43], v[30:31], s[8:9], v[34:35] op_sel:[0,0,1] op_sel_hi:[1,0,0]
	v_pk_fma_f32 v[34:35], v[30:31], s[8:9], v[34:35] op_sel:[0,0,1] op_sel_hi:[1,0,0] neg_lo:[0,0,1] neg_hi:[0,0,1]
	v_mov_b32_e32 v50, v42
	v_mov_b32_e32 v51, v35
	v_pk_fma_f32 v[52:53], v[36:37], s[20:21], v[52:53] op_sel:[0,0,1] op_sel_hi:[1,0,0] neg_lo:[0,0,1] neg_hi:[0,0,1]
	v_pk_add_f32 v[50:51], v[0:1], v[50:51]
	v_mov_b32_e32 v56, v54
	v_mov_b32_e32 v57, v53
	v_pk_add_f32 v[50:51], v[56:57], v[50:51]
	v_pk_mul_f32 v[56:57], v[28:29], s[38:39] op_sel_hi:[1,0]
	v_pk_mul_f32 v[74:75], v[38:39], s[38:39] op_sel_hi:[1,0]
	v_pk_fma_f32 v[58:59], v[40:41], s[24:25], v[56:57] op_sel:[0,0,1] op_sel_hi:[1,0,0]
	v_pk_fma_f32 v[56:57], v[40:41], s[24:25], v[56:57] op_sel:[0,0,1] op_sel_hi:[1,0,0] neg_lo:[0,0,1] neg_hi:[0,0,1]
	v_mov_b32_e32 v60, v58
	v_mov_b32_e32 v61, v57
	v_pk_add_f32 v[50:51], v[60:61], v[50:51]
	v_pk_mul_f32 v[60:61], v[26:27], s[36:37] op_sel_hi:[1,0]
	v_pk_fma_f32 v[76:77], v[36:37], s[24:25], v[74:75] op_sel:[0,0,1] op_sel_hi:[1,0,0]
	v_pk_fma_f32 v[62:63], v[44:45], s[10:11], v[60:61] op_sel:[0,0,1] op_sel_hi:[1,0,0]
	v_pk_fma_f32 v[60:61], v[44:45], s[10:11], v[60:61] op_sel:[0,0,1] op_sel_hi:[1,0,0] neg_lo:[0,0,1] neg_hi:[0,0,1]
	v_mov_b32_e32 v64, v62
	v_mov_b32_e32 v65, v61
	v_pk_add_f32 v[50:51], v[64:65], v[50:51]
	v_pk_mul_f32 v[64:65], v[22:23], s[28:29] op_sel_hi:[1,0]
	v_pk_fma_f32 v[74:75], v[36:37], s[24:25], v[74:75] op_sel:[0,0,1] op_sel_hi:[1,0,0] neg_lo:[0,0,1] neg_hi:[0,0,1]
	v_pk_fma_f32 v[66:67], v[46:47], s[0:1], v[64:65] op_sel:[0,0,1] op_sel_hi:[1,0,0]
	v_pk_fma_f32 v[64:65], v[46:47], s[0:1], v[64:65] op_sel:[0,0,1] op_sel_hi:[1,0,0] neg_lo:[0,0,1] neg_hi:[0,0,1]
	v_mov_b32_e32 v68, v66
	v_mov_b32_e32 v69, v65
	v_pk_add_f32 v[50:51], v[68:69], v[50:51]
	v_pk_mul_f32 v[68:69], v[32:33], s[12:13] op_sel_hi:[1,0]
	v_mov_b32_e32 v78, v76
	v_pk_fma_f32 v[70:71], v[30:31], s[10:11], v[68:69] op_sel:[0,0,1] op_sel_hi:[1,0,0]
	v_pk_fma_f32 v[68:69], v[30:31], s[10:11], v[68:69] op_sel:[0,0,1] op_sel_hi:[1,0,0] neg_lo:[0,0,1] neg_hi:[0,0,1]
	v_mov_b32_e32 v72, v70
	v_mov_b32_e32 v73, v69
	v_pk_add_f32 v[72:73], v[0:1], v[72:73]
	v_mov_b32_e32 v79, v75
	v_pk_add_f32 v[72:73], v[78:79], v[72:73]
	v_pk_mul_f32 v[78:79], v[28:29], s[30:31] op_sel_hi:[1,0]
	v_pk_mul_f32 v[92:93], v[38:39], s[36:37] op_sel_hi:[1,0]
	v_pk_fma_f32 v[80:81], v[40:41], s[8:9], v[78:79] op_sel:[0,0,1] op_sel_hi:[1,0,0]
	v_pk_fma_f32 v[78:79], v[40:41], s[8:9], v[78:79] op_sel:[0,0,1] op_sel_hi:[1,0,0] neg_lo:[0,0,1] neg_hi:[0,0,1]
	v_mov_b32_e32 v82, v80
	v_mov_b32_e32 v83, v79
	v_pk_add_f32 v[72:73], v[82:83], v[72:73]
	v_pk_mul_f32 v[82:83], v[26:27], s[6:7] op_sel_hi:[1,0]
	v_pk_fma_f32 v[94:95], v[36:37], s[10:11], v[92:93] op_sel:[0,0,1] op_sel_hi:[1,0,0]
	v_pk_fma_f32 v[84:85], v[44:45], s[0:1], v[82:83] op_sel:[0,0,1] op_sel_hi:[1,0,0]
	v_pk_fma_f32 v[82:83], v[44:45], s[0:1], v[82:83] op_sel:[0,0,1] op_sel_hi:[1,0,0] neg_lo:[0,0,1] neg_hi:[0,0,1]
	v_mov_b32_e32 v86, v84
	v_mov_b32_e32 v87, v83
	v_pk_add_f32 v[72:73], v[86:87], v[72:73]
	v_pk_mul_f32 v[86:87], v[22:23], s[22:23] op_sel_hi:[1,0]
	v_pk_fma_f32 v[92:93], v[36:37], s[10:11], v[92:93] op_sel:[0,0,1] op_sel_hi:[1,0,0] neg_lo:[0,0,1] neg_hi:[0,0,1]
	v_pk_fma_f32 v[88:89], v[46:47], s[20:21], v[86:87] op_sel:[0,0,1] op_sel_hi:[1,0,0]
	v_pk_fma_f32 v[86:87], v[46:47], s[20:21], v[86:87] op_sel:[0,0,1] op_sel_hi:[1,0,0] neg_lo:[0,0,1] neg_hi:[0,0,1]
	v_mov_b32_e32 v90, v88
	v_mov_b32_e32 v91, v87
	v_pk_add_f32 v[72:73], v[90:91], v[72:73]
	ds_write2_b64 v113, v[50:51], v[72:73] offset0:2 offset1:3
	v_pk_mul_f32 v[50:51], v[32:33], s[22:23] op_sel_hi:[1,0]
	v_mov_b32_e32 v96, v94
	v_pk_fma_f32 v[72:73], v[30:31], s[20:21], v[50:51] op_sel:[0,0,1] op_sel_hi:[1,0,0]
	v_pk_fma_f32 v[50:51], v[30:31], s[20:21], v[50:51] op_sel:[0,0,1] op_sel_hi:[1,0,0] neg_lo:[0,0,1] neg_hi:[0,0,1]
	v_mov_b32_e32 v90, v72
	v_mov_b32_e32 v91, v51
	v_pk_add_f32 v[90:91], v[0:1], v[90:91]
	v_mov_b32_e32 v97, v93
	v_pk_add_f32 v[90:91], v[96:97], v[90:91]
	v_pk_mul_f32 v[96:97], v[28:29], s[6:7] op_sel_hi:[1,0]
	v_pk_mul_f32 v[32:33], v[32:33], s[26:27] op_sel_hi:[1,0]
	v_pk_fma_f32 v[98:99], v[40:41], s[0:1], v[96:97] op_sel:[0,0,1] op_sel_hi:[1,0,0]
	v_pk_fma_f32 v[96:97], v[40:41], s[0:1], v[96:97] op_sel:[0,0,1] op_sel_hi:[1,0,0] neg_lo:[0,0,1] neg_hi:[0,0,1]
	v_mov_b32_e32 v100, v98
	v_mov_b32_e32 v101, v97
	v_pk_add_f32 v[90:91], v[100:101], v[90:91]
	v_pk_mul_f32 v[100:101], v[26:27], s[26:27] op_sel_hi:[1,0]
	v_pk_mul_f32 v[28:29], v[28:29], s[22:23] op_sel_hi:[1,0]
	v_pk_fma_f32 v[102:103], v[44:45], s[24:25], v[100:101] op_sel:[0,0,1] op_sel_hi:[1,0,0]
	v_pk_fma_f32 v[100:101], v[44:45], s[24:25], v[100:101] op_sel:[0,0,1] op_sel_hi:[1,0,0] neg_lo:[0,0,1] neg_hi:[0,0,1]
	v_mov_b32_e32 v104, v102
	;; [unrolled: 7-line block ×3, first 2 shown]
	v_mov_b32_e32 v109, v105
	v_pk_add_f32 v[90:91], v[108:109], v[90:91]
	v_pk_fma_f32 v[108:109], v[30:31], s[24:25], v[32:33] op_sel:[0,0,1] op_sel_hi:[1,0,0]
	v_pk_fma_f32 v[30:31], v[30:31], s[24:25], v[32:33] op_sel:[0,0,1] op_sel_hi:[1,0,0] neg_lo:[0,0,1] neg_hi:[0,0,1]
	v_pk_mul_f32 v[32:33], v[38:39], s[28:29] op_sel_hi:[1,0]
	v_pk_mul_f32 v[22:23], v[22:23], s[12:13] op_sel_hi:[1,0]
	v_pk_fma_f32 v[38:39], v[36:37], s[0:1], v[32:33] op_sel:[0,0,1] op_sel_hi:[1,0,0]
	v_pk_fma_f32 v[32:33], v[36:37], s[0:1], v[32:33] op_sel:[0,0,1] op_sel_hi:[1,0,0] neg_lo:[0,0,1] neg_hi:[0,0,1]
	v_mov_b32_e32 v36, v108
	v_mov_b32_e32 v37, v31
	v_pk_add_f32 v[36:37], v[0:1], v[36:37]
	v_mov_b32_e32 v110, v38
	v_mov_b32_e32 v111, v33
	v_pk_add_f32 v[36:37], v[110:111], v[36:37]
	v_pk_fma_f32 v[110:111], v[40:41], s[20:21], v[28:29] op_sel:[0,0,1] op_sel_hi:[1,0,0]
	v_pk_fma_f32 v[28:29], v[40:41], s[20:21], v[28:29] op_sel:[0,0,1] op_sel_hi:[1,0,0] neg_lo:[0,0,1] neg_hi:[0,0,1]
	v_mov_b32_e32 v40, v110
	v_mov_b32_e32 v41, v29
	;; [unrolled: 1-line block ×3, first 2 shown]
	v_pk_add_f32 v[36:37], v[40:41], v[36:37]
	v_pk_fma_f32 v[40:41], v[44:45], s[8:9], v[26:27] op_sel:[0,0,1] op_sel_hi:[1,0,0]
	v_pk_fma_f32 v[26:27], v[44:45], s[8:9], v[26:27] op_sel:[0,0,1] op_sel_hi:[1,0,0] neg_lo:[0,0,1] neg_hi:[0,0,1]
	v_mov_b32_e32 v33, v39
	v_pk_add_f32 v[30:31], v[0:1], v[30:31]
	v_mov_b32_e32 v44, v40
	v_mov_b32_e32 v45, v27
	v_pk_add_f32 v[30:31], v[32:33], v[30:31]
	v_mov_b32_e32 v29, v111
	v_pk_add_f32 v[36:37], v[44:45], v[36:37]
	v_pk_fma_f32 v[44:45], v[46:47], s[10:11], v[22:23] op_sel:[0,0,1] op_sel_hi:[1,0,0]
	v_pk_fma_f32 v[22:23], v[46:47], s[10:11], v[22:23] op_sel:[0,0,1] op_sel_hi:[1,0,0] neg_lo:[0,0,1] neg_hi:[0,0,1]
	v_pk_add_f32 v[28:29], v[28:29], v[30:31]
	v_mov_b32_e32 v27, v41
	v_mov_b32_e32 v47, v23
	v_pk_add_f32 v[26:27], v[26:27], v[28:29]
	v_mov_b32_e32 v23, v45
	v_mov_b32_e32 v51, v73
	v_pk_add_f32 v[22:23], v[22:23], v[26:27]
	v_mov_b32_e32 v93, v95
	v_pk_add_f32 v[26:27], v[0:1], v[50:51]
	;; [unrolled: 2-line block ×6, first 2 shown]
	v_mov_b32_e32 v35, v43
	v_mov_b32_e32 v7, v5
	ds_write2_b64 v113, v[22:23], v[26:27] offset0:6 offset1:7
	v_pk_add_f32 v[22:23], v[0:1], v[68:69]
	v_pk_add_f32 v[26:27], v[0:1], v[34:35]
	;; [unrolled: 1-line block ×3, first 2 shown]
	v_mov_b32_e32 v11, v9
	v_pk_add_f32 v[0:1], v[10:11], v[0:1]
	v_mov_b32_e32 v15, v13
	v_mov_b32_e32 v75, v77
	;; [unrolled: 1-line block ×3, first 2 shown]
	v_pk_add_f32 v[0:1], v[14:15], v[0:1]
	v_mov_b32_e32 v19, v17
	v_pk_add_f32 v[22:23], v[74:75], v[22:23]
	v_mov_b32_e32 v79, v81
	;; [unrolled: 2-line block ×9, first 2 shown]
	ds_write_b64 v113, v[0:1] offset:80
	v_mul_u32_u24_e32 v0, 10, v21
	v_pk_add_f32 v[36:37], v[46:47], v[36:37]
	v_pk_add_f32 v[22:23], v[86:87], v[22:23]
	v_pk_add_f32 v[26:27], v[64:65], v[26:27]
	v_lshlrev_b32_e32 v0, 3, v0
	ds_write2_b64 v113, v[90:91], v[36:37] offset0:4 offset1:5
	ds_write2_b64 v113, v[22:23], v[26:27] offset0:8 offset1:9
	s_waitcnt lgkmcnt(0)
	s_barrier
	global_load_dwordx4 v[4:7], v0, s[4:5]
	global_load_dwordx4 v[8:11], v0, s[4:5] offset:16
	global_load_dwordx4 v[12:15], v0, s[4:5] offset:32
	;; [unrolled: 1-line block ×4, first 2 shown]
	ds_read_b64 v[0:1], v112
	ds_read2_b64 v[26:29], v2 offset0:11 offset1:22
	ds_read2_b64 v[30:33], v2 offset0:33 offset1:44
	;; [unrolled: 1-line block ×4, first 2 shown]
	ds_read2_b32 v[42:43], v2 offset0:110 offset1:111
	ds_read_b64 v[44:45], v2 offset:880
	s_waitcnt lgkmcnt(5)
	v_mov_b32_e32 v48, v29
	s_waitcnt lgkmcnt(0)
	s_barrier
	s_waitcnt vmcnt(4)
	v_mov_b32_e32 v46, v7
	v_mov_b32_e32 v47, v6
	v_pk_mul_f32 v[6:7], v[6:7], v[28:29] op_sel_hi:[1,0]
	s_nop 0
	v_pk_fma_f32 v[48:49], v[46:47], v[48:49], v[6:7]
	v_pk_fma_f32 v[6:7], v[46:47], v[28:29], v[6:7] op_sel:[0,1,0] neg_lo:[0,0,1] neg_hi:[0,0,1]
	s_nop 0
	v_mov_b32_e32 v49, v7
	s_waitcnt vmcnt(3)
	v_pk_mul_f32 v[6:7], v[8:9], v[30:31] op_sel:[0,1]
	s_nop 0
	v_pk_fma_f32 v[28:29], v[8:9], v[30:31], v[6:7] op_sel:[0,0,1] op_sel_hi:[1,1,0]
	v_pk_fma_f32 v[6:7], v[8:9], v[30:31], v[6:7] op_sel:[0,0,1] op_sel_hi:[1,0,0] neg_lo:[1,0,0] neg_hi:[1,0,0]
	s_nop 0
	v_mov_b32_e32 v29, v7
	v_pk_mul_f32 v[6:7], v[10:11], v[32:33] op_sel:[0,1]
	s_nop 0
	v_pk_fma_f32 v[8:9], v[10:11], v[32:33], v[6:7] op_sel:[0,0,1] op_sel_hi:[1,1,0]
	v_pk_fma_f32 v[6:7], v[10:11], v[32:33], v[6:7] op_sel:[0,0,1] op_sel_hi:[1,0,0] neg_lo:[1,0,0] neg_hi:[1,0,0]
	s_nop 0
	v_mov_b32_e32 v6, v43
	v_mov_b32_e32 v9, v7
	s_waitcnt vmcnt(2)
	v_pk_mul_f32 v[6:7], v[6:7], v[12:13] op_sel_hi:[0,1]
	v_pk_fma_f32 v[10:11], v[12:13], v[42:43], v[6:7] op_sel:[0,0,1] op_sel_hi:[1,1,0]
	v_pk_fma_f32 v[6:7], v[12:13], v[42:43], v[6:7] op_sel:[0,0,1] op_sel_hi:[1,0,0] neg_lo:[1,0,0] neg_hi:[1,0,0]
	s_nop 0
	v_mov_b32_e32 v6, v15
	v_mov_b32_e32 v11, v7
	v_pk_mul_f32 v[6:7], v[34:35], v[6:7] op_sel_hi:[1,0]
	s_nop 0
	v_pk_fma_f32 v[12:13], v[34:35], v[14:15], v[6:7] op_sel:[0,0,1] op_sel_hi:[1,1,0]
	v_pk_fma_f32 v[6:7], v[34:35], v[14:15], v[6:7] op_sel:[0,0,1] op_sel_hi:[1,0,0] neg_lo:[0,0,1] neg_hi:[0,0,1]
	s_nop 0
	v_mov_b32_e32 v13, v7
	s_waitcnt vmcnt(1)
	v_pk_mul_f32 v[6:7], v[36:37], v[16:17] op_sel:[0,1]
	s_nop 0
	v_pk_fma_f32 v[14:15], v[36:37], v[16:17], v[6:7] op_sel:[0,0,1] op_sel_hi:[1,1,0]
	v_pk_fma_f32 v[6:7], v[36:37], v[16:17], v[6:7] op_sel:[0,0,1] op_sel_hi:[1,0,0] neg_lo:[0,0,1] neg_hi:[0,0,1]
	s_nop 0
	v_mov_b32_e32 v6, v19
	v_mov_b32_e32 v15, v7
	v_pk_mul_f32 v[6:7], v[38:39], v[6:7] op_sel_hi:[1,0]
	s_nop 0
	v_pk_fma_f32 v[16:17], v[38:39], v[18:19], v[6:7] op_sel:[0,0,1] op_sel_hi:[1,1,0]
	v_pk_fma_f32 v[6:7], v[38:39], v[18:19], v[6:7] op_sel:[0,0,1] op_sel_hi:[1,0,0] neg_lo:[0,0,1] neg_hi:[0,0,1]
	s_nop 0
	v_mov_b32_e32 v17, v7
	s_waitcnt vmcnt(0)
	v_pk_mul_f32 v[6:7], v[40:41], v[22:23] op_sel:[0,1]
	s_nop 0
	v_pk_fma_f32 v[18:19], v[40:41], v[22:23], v[6:7] op_sel:[0,0,1] op_sel_hi:[1,1,0]
	v_pk_fma_f32 v[6:7], v[40:41], v[22:23], v[6:7] op_sel:[0,0,1] op_sel_hi:[1,0,0] neg_lo:[0,0,1] neg_hi:[0,0,1]
	s_nop 0
	v_mov_b32_e32 v6, v25
	v_mov_b32_e32 v19, v7
	v_pk_mul_f32 v[6:7], v[44:45], v[6:7] op_sel_hi:[1,0]
	v_pk_add_f32 v[32:33], v[48:49], v[18:19]
	v_pk_fma_f32 v[22:23], v[44:45], v[24:25], v[6:7] op_sel:[0,0,1] op_sel_hi:[1,1,0]
	v_pk_fma_f32 v[6:7], v[44:45], v[24:25], v[6:7] op_sel:[0,0,1] op_sel_hi:[1,0,0] neg_lo:[0,0,1] neg_hi:[0,0,1]
	s_nop 0
	v_mov_b32_e32 v23, v7
	v_pk_mul_f32 v[6:7], v[4:5], v[26:27] op_sel:[0,1]
	s_nop 0
	v_pk_fma_f32 v[24:25], v[4:5], v[26:27], v[6:7] op_sel:[0,0,1] op_sel_hi:[1,1,0]
	v_pk_fma_f32 v[4:5], v[4:5], v[26:27], v[6:7] op_sel:[0,0,1] op_sel_hi:[1,0,0] neg_lo:[1,0,0] neg_hi:[1,0,0]
	s_nop 0
	v_mov_b32_e32 v25, v5
	v_pk_add_f32 v[4:5], v[24:25], v[0:1]
	v_pk_add_f32 v[6:7], v[24:25], v[22:23]
	;; [unrolled: 1-line block ×3, first 2 shown]
	s_nop 0
	v_pk_add_f32 v[4:5], v[4:5], v[28:29]
	s_nop 0
	v_pk_add_f32 v[4:5], v[4:5], v[8:9]
	;; [unrolled: 2-line block ×7, first 2 shown]
	v_pk_add_f32 v[18:19], v[48:49], v[18:19] neg_lo:[0,1] neg_hi:[0,1]
	v_pk_add_f32 v[4:5], v[4:5], v[22:23]
	v_pk_add_f32 v[22:23], v[24:25], v[22:23] neg_lo:[0,1] neg_hi:[0,1]
	v_pk_mul_f32 v[34:35], v[18:19], s[34:35] op_sel_hi:[1,0]
	v_pk_mul_f32 v[24:25], v[22:23], s[6:7] op_sel_hi:[1,0]
	v_pk_fma_f32 v[36:37], v[32:33], s[8:9], v[34:35] op_sel:[0,0,1] op_sel_hi:[1,0,0]
	v_pk_fma_f32 v[26:27], v[6:7], s[0:1], v[24:25] op_sel:[0,0,1] op_sel_hi:[1,0,0]
	v_pk_fma_f32 v[24:25], v[6:7], s[0:1], v[24:25] op_sel:[0,0,1] op_sel_hi:[1,0,0] neg_lo:[0,0,1] neg_hi:[0,0,1]
	v_mov_b32_e32 v30, v26
	v_mov_b32_e32 v31, v25
	v_pk_fma_f32 v[34:35], v[32:33], s[8:9], v[34:35] op_sel:[0,0,1] op_sel_hi:[1,0,0] neg_lo:[0,0,1] neg_hi:[0,0,1]
	v_pk_add_f32 v[30:31], v[30:31], v[0:1]
	v_mov_b32_e32 v38, v36
	v_mov_b32_e32 v39, v35
	v_pk_add_f32 v[30:31], v[38:39], v[30:31]
	v_pk_add_f32 v[38:39], v[28:29], v[16:17]
	v_pk_add_f32 v[16:17], v[28:29], v[16:17] neg_lo:[0,1] neg_hi:[0,1]
	v_pk_mul_f32 v[52:53], v[18:19], s[22:23] op_sel_hi:[1,0]
	v_pk_mul_f32 v[28:29], v[16:17], s[12:13] op_sel_hi:[1,0]
	v_pk_fma_f32 v[54:55], v[32:33], s[20:21], v[52:53] op_sel:[0,0,1] op_sel_hi:[1,0,0]
	v_pk_fma_f32 v[40:41], v[38:39], s[10:11], v[28:29] op_sel:[0,0,1] op_sel_hi:[1,0,0]
	v_pk_fma_f32 v[28:29], v[38:39], s[10:11], v[28:29] op_sel:[0,0,1] op_sel_hi:[1,0,0] neg_lo:[0,0,1] neg_hi:[0,0,1]
	v_mov_b32_e32 v42, v40
	v_mov_b32_e32 v43, v29
	v_pk_add_f32 v[30:31], v[42:43], v[30:31]
	v_pk_add_f32 v[42:43], v[8:9], v[14:15]
	v_pk_add_f32 v[8:9], v[8:9], v[14:15] neg_lo:[0,1] neg_hi:[0,1]
	v_pk_fma_f32 v[52:53], v[32:33], s[20:21], v[52:53] op_sel:[0,0,1] op_sel_hi:[1,0,0] neg_lo:[0,0,1] neg_hi:[0,0,1]
	v_pk_mul_f32 v[14:15], v[8:9], s[22:23] op_sel_hi:[1,0]
	v_mov_b32_e32 v56, v54
	v_pk_fma_f32 v[44:45], v[42:43], s[20:21], v[14:15] op_sel:[0,0,1] op_sel_hi:[1,0,0]
	v_pk_fma_f32 v[14:15], v[42:43], s[20:21], v[14:15] op_sel:[0,0,1] op_sel_hi:[1,0,0] neg_lo:[0,0,1] neg_hi:[0,0,1]
	v_mov_b32_e32 v46, v44
	v_mov_b32_e32 v47, v15
	v_pk_add_f32 v[30:31], v[46:47], v[30:31]
	v_pk_add_f32 v[46:47], v[10:11], v[12:13]
	v_pk_add_f32 v[10:11], v[10:11], v[12:13] neg_lo:[0,1] neg_hi:[0,1]
	v_mov_b32_e32 v57, v53
	v_pk_mul_f32 v[12:13], v[10:11], s[26:27] op_sel_hi:[1,0]
	v_pk_mul_f32 v[74:75], v[18:19], s[38:39] op_sel_hi:[1,0]
	v_pk_fma_f32 v[48:49], v[46:47], s[24:25], v[12:13] op_sel:[0,0,1] op_sel_hi:[1,0,0]
	v_pk_fma_f32 v[12:13], v[46:47], s[24:25], v[12:13] op_sel:[0,0,1] op_sel_hi:[1,0,0] neg_lo:[0,0,1] neg_hi:[0,0,1]
	v_mov_b32_e32 v50, v48
	v_mov_b32_e32 v51, v13
	v_pk_add_f32 v[30:31], v[50:51], v[30:31]
	ds_write2_b64 v2, v[4:5], v[30:31] offset1:11
	v_pk_mul_f32 v[4:5], v[22:23], s[34:35] op_sel_hi:[1,0]
	v_pk_fma_f32 v[76:77], v[32:33], s[24:25], v[74:75] op_sel:[0,0,1] op_sel_hi:[1,0,0]
	v_pk_fma_f32 v[30:31], v[6:7], s[8:9], v[4:5] op_sel:[0,0,1] op_sel_hi:[1,0,0]
	v_pk_fma_f32 v[4:5], v[6:7], s[8:9], v[4:5] op_sel:[0,0,1] op_sel_hi:[1,0,0] neg_lo:[0,0,1] neg_hi:[0,0,1]
	v_mov_b32_e32 v50, v30
	v_mov_b32_e32 v51, v5
	v_pk_add_f32 v[50:51], v[50:51], v[0:1]
	v_pk_fma_f32 v[74:75], v[32:33], s[24:25], v[74:75] op_sel:[0,0,1] op_sel_hi:[1,0,0] neg_lo:[0,0,1] neg_hi:[0,0,1]
	v_pk_add_f32 v[50:51], v[56:57], v[50:51]
	v_pk_mul_f32 v[56:57], v[16:17], s[38:39] op_sel_hi:[1,0]
	v_mov_b32_e32 v78, v76
	v_pk_fma_f32 v[58:59], v[38:39], s[24:25], v[56:57] op_sel:[0,0,1] op_sel_hi:[1,0,0]
	v_pk_fma_f32 v[56:57], v[38:39], s[24:25], v[56:57] op_sel:[0,0,1] op_sel_hi:[1,0,0] neg_lo:[0,0,1] neg_hi:[0,0,1]
	v_mov_b32_e32 v60, v58
	v_mov_b32_e32 v61, v57
	v_pk_add_f32 v[50:51], v[60:61], v[50:51]
	v_pk_mul_f32 v[60:61], v[8:9], s[36:37] op_sel_hi:[1,0]
	v_mov_b32_e32 v79, v75
	v_pk_fma_f32 v[62:63], v[42:43], s[10:11], v[60:61] op_sel:[0,0,1] op_sel_hi:[1,0,0]
	v_pk_fma_f32 v[60:61], v[42:43], s[10:11], v[60:61] op_sel:[0,0,1] op_sel_hi:[1,0,0] neg_lo:[0,0,1] neg_hi:[0,0,1]
	v_mov_b32_e32 v64, v62
	v_mov_b32_e32 v65, v61
	v_pk_add_f32 v[50:51], v[64:65], v[50:51]
	v_pk_mul_f32 v[64:65], v[10:11], s[28:29] op_sel_hi:[1,0]
	v_pk_mul_f32 v[92:93], v[18:19], s[36:37] op_sel_hi:[1,0]
	v_pk_fma_f32 v[66:67], v[46:47], s[0:1], v[64:65] op_sel:[0,0,1] op_sel_hi:[1,0,0]
	v_pk_fma_f32 v[64:65], v[46:47], s[0:1], v[64:65] op_sel:[0,0,1] op_sel_hi:[1,0,0] neg_lo:[0,0,1] neg_hi:[0,0,1]
	v_mov_b32_e32 v68, v66
	v_mov_b32_e32 v69, v65
	v_pk_add_f32 v[50:51], v[68:69], v[50:51]
	v_pk_mul_f32 v[68:69], v[22:23], s[12:13] op_sel_hi:[1,0]
	v_pk_fma_f32 v[94:95], v[32:33], s[10:11], v[92:93] op_sel:[0,0,1] op_sel_hi:[1,0,0]
	v_pk_fma_f32 v[70:71], v[6:7], s[10:11], v[68:69] op_sel:[0,0,1] op_sel_hi:[1,0,0]
	v_pk_fma_f32 v[68:69], v[6:7], s[10:11], v[68:69] op_sel:[0,0,1] op_sel_hi:[1,0,0] neg_lo:[0,0,1] neg_hi:[0,0,1]
	v_mov_b32_e32 v72, v70
	v_mov_b32_e32 v73, v69
	v_pk_add_f32 v[72:73], v[72:73], v[0:1]
	v_pk_fma_f32 v[92:93], v[32:33], s[10:11], v[92:93] op_sel:[0,0,1] op_sel_hi:[1,0,0] neg_lo:[0,0,1] neg_hi:[0,0,1]
	v_pk_add_f32 v[72:73], v[78:79], v[72:73]
	v_pk_mul_f32 v[78:79], v[16:17], s[30:31] op_sel_hi:[1,0]
	v_mov_b32_e32 v96, v94
	v_pk_fma_f32 v[80:81], v[38:39], s[8:9], v[78:79] op_sel:[0,0,1] op_sel_hi:[1,0,0]
	v_pk_fma_f32 v[78:79], v[38:39], s[8:9], v[78:79] op_sel:[0,0,1] op_sel_hi:[1,0,0] neg_lo:[0,0,1] neg_hi:[0,0,1]
	v_mov_b32_e32 v82, v80
	v_mov_b32_e32 v83, v79
	v_pk_add_f32 v[72:73], v[82:83], v[72:73]
	v_pk_mul_f32 v[82:83], v[8:9], s[6:7] op_sel_hi:[1,0]
	v_mov_b32_e32 v97, v93
	v_pk_fma_f32 v[84:85], v[42:43], s[0:1], v[82:83] op_sel:[0,0,1] op_sel_hi:[1,0,0]
	v_pk_fma_f32 v[82:83], v[42:43], s[0:1], v[82:83] op_sel:[0,0,1] op_sel_hi:[1,0,0] neg_lo:[0,0,1] neg_hi:[0,0,1]
	v_mov_b32_e32 v86, v84
	v_mov_b32_e32 v87, v83
	v_pk_add_f32 v[72:73], v[86:87], v[72:73]
	v_pk_mul_f32 v[86:87], v[10:11], s[22:23] op_sel_hi:[1,0]
	v_pk_mul_f32 v[18:19], v[18:19], s[28:29] op_sel_hi:[1,0]
	v_pk_fma_f32 v[88:89], v[46:47], s[20:21], v[86:87] op_sel:[0,0,1] op_sel_hi:[1,0,0]
	v_pk_fma_f32 v[86:87], v[46:47], s[20:21], v[86:87] op_sel:[0,0,1] op_sel_hi:[1,0,0] neg_lo:[0,0,1] neg_hi:[0,0,1]
	v_mov_b32_e32 v90, v88
	v_mov_b32_e32 v91, v87
	v_pk_add_f32 v[72:73], v[90:91], v[72:73]
	ds_write2_b64 v2, v[50:51], v[72:73] offset0:22 offset1:33
	v_pk_mul_f32 v[50:51], v[22:23], s[22:23] op_sel_hi:[1,0]
	v_pk_mul_f32 v[22:23], v[22:23], s[26:27] op_sel_hi:[1,0]
	v_pk_fma_f32 v[72:73], v[6:7], s[20:21], v[50:51] op_sel:[0,0,1] op_sel_hi:[1,0,0]
	v_pk_fma_f32 v[50:51], v[6:7], s[20:21], v[50:51] op_sel:[0,0,1] op_sel_hi:[1,0,0] neg_lo:[0,0,1] neg_hi:[0,0,1]
	v_mov_b32_e32 v90, v72
	v_mov_b32_e32 v91, v51
	v_pk_add_f32 v[90:91], v[90:91], v[0:1]
	v_mov_b32_e32 v51, v73
	v_pk_add_f32 v[90:91], v[96:97], v[90:91]
	v_pk_mul_f32 v[96:97], v[16:17], s[6:7] op_sel_hi:[1,0]
	v_pk_mul_f32 v[16:17], v[16:17], s[22:23] op_sel_hi:[1,0]
	v_pk_fma_f32 v[98:99], v[38:39], s[0:1], v[96:97] op_sel:[0,0,1] op_sel_hi:[1,0,0]
	v_pk_fma_f32 v[96:97], v[38:39], s[0:1], v[96:97] op_sel:[0,0,1] op_sel_hi:[1,0,0] neg_lo:[0,0,1] neg_hi:[0,0,1]
	v_mov_b32_e32 v100, v98
	v_mov_b32_e32 v101, v97
	v_pk_add_f32 v[90:91], v[100:101], v[90:91]
	v_pk_mul_f32 v[100:101], v[8:9], s[26:27] op_sel_hi:[1,0]
	v_pk_mul_f32 v[8:9], v[8:9], s[30:31] op_sel_hi:[1,0]
	v_pk_fma_f32 v[102:103], v[42:43], s[24:25], v[100:101] op_sel:[0,0,1] op_sel_hi:[1,0,0]
	v_pk_fma_f32 v[100:101], v[42:43], s[24:25], v[100:101] op_sel:[0,0,1] op_sel_hi:[1,0,0] neg_lo:[0,0,1] neg_hi:[0,0,1]
	v_mov_b32_e32 v104, v102
	v_mov_b32_e32 v105, v101
	v_pk_add_f32 v[90:91], v[104:105], v[90:91]
	v_pk_mul_f32 v[104:105], v[10:11], s[30:31] op_sel_hi:[1,0]
	v_mov_b32_e32 v93, v95
	v_pk_fma_f32 v[106:107], v[46:47], s[8:9], v[104:105] op_sel:[0,0,1] op_sel_hi:[1,0,0]
	v_pk_fma_f32 v[104:105], v[46:47], s[8:9], v[104:105] op_sel:[0,0,1] op_sel_hi:[1,0,0] neg_lo:[0,0,1] neg_hi:[0,0,1]
	v_mov_b32_e32 v108, v106
	v_mov_b32_e32 v109, v105
	v_pk_add_f32 v[90:91], v[108:109], v[90:91]
	v_pk_fma_f32 v[108:109], v[6:7], s[24:25], v[22:23] op_sel:[0,0,1] op_sel_hi:[1,0,0]
	v_pk_fma_f32 v[6:7], v[6:7], s[24:25], v[22:23] op_sel:[0,0,1] op_sel_hi:[1,0,0] neg_lo:[0,0,1] neg_hi:[0,0,1]
	v_pk_fma_f32 v[22:23], v[32:33], s[0:1], v[18:19] op_sel:[0,0,1] op_sel_hi:[1,0,0]
	v_pk_fma_f32 v[18:19], v[32:33], s[0:1], v[18:19] op_sel:[0,0,1] op_sel_hi:[1,0,0] neg_lo:[0,0,1] neg_hi:[0,0,1]
	v_mov_b32_e32 v32, v108
	v_mov_b32_e32 v33, v7
	v_pk_add_f32 v[32:33], v[32:33], v[0:1]
	v_mov_b32_e32 v110, v22
	v_mov_b32_e32 v111, v19
	v_pk_add_f32 v[32:33], v[110:111], v[32:33]
	v_pk_fma_f32 v[110:111], v[38:39], s[20:21], v[16:17] op_sel:[0,0,1] op_sel_hi:[1,0,0]
	v_pk_fma_f32 v[16:17], v[38:39], s[20:21], v[16:17] op_sel:[0,0,1] op_sel_hi:[1,0,0] neg_lo:[0,0,1] neg_hi:[0,0,1]
	v_mov_b32_e32 v7, v109
	v_mov_b32_e32 v38, v110
	;; [unrolled: 1-line block ×4, first 2 shown]
	v_pk_add_f32 v[6:7], v[6:7], v[0:1]
	v_pk_add_f32 v[32:33], v[38:39], v[32:33]
	v_pk_fma_f32 v[38:39], v[42:43], s[8:9], v[8:9] op_sel:[0,0,1] op_sel_hi:[1,0,0]
	v_pk_fma_f32 v[8:9], v[42:43], s[8:9], v[8:9] op_sel:[0,0,1] op_sel_hi:[1,0,0] neg_lo:[0,0,1] neg_hi:[0,0,1]
	v_pk_add_f32 v[6:7], v[18:19], v[6:7]
	v_mov_b32_e32 v17, v111
	v_mov_b32_e32 v43, v9
	v_pk_add_f32 v[6:7], v[16:17], v[6:7]
	v_mov_b32_e32 v9, v39
	v_pk_add_f32 v[6:7], v[8:9], v[6:7]
	v_pk_add_f32 v[8:9], v[50:51], v[0:1]
	v_mov_b32_e32 v42, v38
	v_pk_mul_f32 v[10:11], v[10:11], s[12:13] op_sel_hi:[1,0]
	v_pk_add_f32 v[8:9], v[92:93], v[8:9]
	v_mov_b32_e32 v97, v99
	v_pk_add_f32 v[32:33], v[42:43], v[32:33]
	v_pk_fma_f32 v[42:43], v[46:47], s[10:11], v[10:11] op_sel:[0,0,1] op_sel_hi:[1,0,0]
	v_pk_fma_f32 v[10:11], v[46:47], s[10:11], v[10:11] op_sel:[0,0,1] op_sel_hi:[1,0,0] neg_lo:[0,0,1] neg_hi:[0,0,1]
	v_pk_add_f32 v[8:9], v[96:97], v[8:9]
	v_mov_b32_e32 v101, v103
	v_mov_b32_e32 v47, v11
	v_mov_b32_e32 v11, v43
	v_pk_add_f32 v[8:9], v[100:101], v[8:9]
	v_mov_b32_e32 v105, v107
	v_pk_add_f32 v[6:7], v[10:11], v[6:7]
	v_pk_add_f32 v[8:9], v[104:105], v[8:9]
	v_mov_b32_e32 v69, v71
	v_mov_b32_e32 v5, v31
	;; [unrolled: 1-line block ×3, first 2 shown]
	ds_write2_b64 v2, v[6:7], v[8:9] offset0:66 offset1:77
	v_pk_add_f32 v[6:7], v[68:69], v[0:1]
	v_pk_add_f32 v[4:5], v[4:5], v[0:1]
	;; [unrolled: 1-line block ×3, first 2 shown]
	v_mov_b32_e32 v35, v37
	v_mov_b32_e32 v75, v77
	;; [unrolled: 1-line block ×3, first 2 shown]
	v_pk_add_f32 v[0:1], v[34:35], v[0:1]
	v_mov_b32_e32 v29, v41
	v_pk_add_f32 v[6:7], v[74:75], v[6:7]
	v_mov_b32_e32 v79, v81
	;; [unrolled: 2-line block ×7, first 2 shown]
	v_mov_b32_e32 v46, v42
	v_pk_add_f32 v[6:7], v[82:83], v[6:7]
	v_mov_b32_e32 v87, v89
	v_pk_add_f32 v[4:5], v[60:61], v[4:5]
	;; [unrolled: 2-line block ×3, first 2 shown]
	v_pk_add_f32 v[32:33], v[46:47], v[32:33]
	v_pk_add_f32 v[6:7], v[86:87], v[6:7]
	;; [unrolled: 1-line block ×3, first 2 shown]
	ds_write_b64 v2, v[0:1] offset:880
	v_mad_u64_u32 v[0:1], s[4:5], s16, v21, 0
	ds_write2_b64 v2, v[90:91], v[32:33] offset0:44 offset1:55
	ds_write2_b64 v2, v[6:7], v[4:5] offset0:88 offset1:99
	v_mov_b32_e32 v2, v1
	s_mul_i32 s0, s16, s25
	v_mad_u64_u32 v[4:5], s[4:5], s17, v21, v[2:3]
	v_mov_b32_e32 v1, v4
	v_mul_u32_u24_e32 v4, 0x3c8, v21
	v_lshlrev_b32_e32 v5, 3, v20
	s_lshl_b64 s[0:1], s[0:1], 3
	s_mul_i32 s6, s27, s18
	v_add3_u32 v12, 0, v4, v5
	s_add_u32 s2, s2, s0
	s_waitcnt lgkmcnt(0)
	s_barrier
	s_addc_u32 s3, s3, s1
	s_lshl_b64 s[0:1], s[6:7], 3
	ds_read2_b64 v[4:7], v12 offset1:11
	s_add_u32 s0, s2, s0
	s_addc_u32 s1, s3, s1
	v_mul_lo_u32 v2, s19, v20
	v_lshl_add_u64 v[0:1], v[0:1], 3, s[0:1]
	v_lshl_add_u64 v[8:9], v[2:3], 3, v[0:1]
	s_waitcnt lgkmcnt(0)
	global_store_dwordx2 v[8:9], v[4:5], off
	ds_read2_b64 v[8:11], v12 offset0:22 offset1:33
	s_mul_i32 s19, s19, 11
	v_add_u32_e32 v2, s19, v2
	v_lshl_add_u64 v[4:5], v[2:3], 3, v[0:1]
	v_add_u32_e32 v2, s19, v2
	global_store_dwordx2 v[4:5], v[6:7], off
	v_lshl_add_u64 v[4:5], v[2:3], 3, v[0:1]
	s_waitcnt lgkmcnt(0)
	global_store_dwordx2 v[4:5], v[8:9], off
	ds_read2_b64 v[4:7], v12 offset0:44 offset1:55
	v_add_u32_e32 v2, s19, v2
	v_lshl_add_u64 v[8:9], v[2:3], 3, v[0:1]
	v_add_u32_e32 v2, s19, v2
	global_store_dwordx2 v[8:9], v[10:11], off
	v_lshl_add_u64 v[8:9], v[2:3], 3, v[0:1]
	s_waitcnt lgkmcnt(0)
	global_store_dwordx2 v[8:9], v[4:5], off
	ds_read2_b64 v[8:11], v12 offset0:66 offset1:77
	;; [unrolled: 8-line block ×3, first 2 shown]
	v_add_u32_e32 v2, s19, v2
	v_lshl_add_u64 v[8:9], v[2:3], 3, v[0:1]
	v_add_u32_e32 v2, s19, v2
	global_store_dwordx2 v[8:9], v[10:11], off
	v_lshl_add_u64 v[8:9], v[2:3], 3, v[0:1]
	s_waitcnt lgkmcnt(0)
	global_store_dwordx2 v[8:9], v[4:5], off
	ds_read_b64 v[4:5], v12 offset:880
	v_add_u32_e32 v2, s19, v2
	v_lshl_add_u64 v[8:9], v[2:3], 3, v[0:1]
	v_add_u32_e32 v2, s19, v2
	v_lshl_add_u64 v[0:1], v[2:3], 3, v[0:1]
	global_store_dwordx2 v[8:9], v[6:7], off
	s_waitcnt lgkmcnt(0)
	global_store_dwordx2 v[0:1], v[4:5], off
	s_endpgm
	.section	.rodata,"a",@progbits
	.p2align	6, 0x0
	.amdhsa_kernel fft_rtc_back_len121_factors_11_11_wgs_121_tpt_11_sp_op_CI_CI_sbrc_z_xy_diag
		.amdhsa_group_segment_fixed_size 0
		.amdhsa_private_segment_fixed_size 0
		.amdhsa_kernarg_size 104
		.amdhsa_user_sgpr_count 2
		.amdhsa_user_sgpr_dispatch_ptr 0
		.amdhsa_user_sgpr_queue_ptr 0
		.amdhsa_user_sgpr_kernarg_segment_ptr 1
		.amdhsa_user_sgpr_dispatch_id 0
		.amdhsa_user_sgpr_kernarg_preload_length 0
		.amdhsa_user_sgpr_kernarg_preload_offset 0
		.amdhsa_user_sgpr_private_segment_size 0
		.amdhsa_uses_dynamic_stack 0
		.amdhsa_enable_private_segment 0
		.amdhsa_system_sgpr_workgroup_id_x 1
		.amdhsa_system_sgpr_workgroup_id_y 0
		.amdhsa_system_sgpr_workgroup_id_z 0
		.amdhsa_system_sgpr_workgroup_info 0
		.amdhsa_system_vgpr_workitem_id 0
		.amdhsa_next_free_vgpr 114
		.amdhsa_next_free_sgpr 40
		.amdhsa_accum_offset 116
		.amdhsa_reserve_vcc 0
		.amdhsa_float_round_mode_32 0
		.amdhsa_float_round_mode_16_64 0
		.amdhsa_float_denorm_mode_32 3
		.amdhsa_float_denorm_mode_16_64 3
		.amdhsa_dx10_clamp 1
		.amdhsa_ieee_mode 1
		.amdhsa_fp16_overflow 0
		.amdhsa_tg_split 0
		.amdhsa_exception_fp_ieee_invalid_op 0
		.amdhsa_exception_fp_denorm_src 0
		.amdhsa_exception_fp_ieee_div_zero 0
		.amdhsa_exception_fp_ieee_overflow 0
		.amdhsa_exception_fp_ieee_underflow 0
		.amdhsa_exception_fp_ieee_inexact 0
		.amdhsa_exception_int_div_zero 0
	.end_amdhsa_kernel
	.text
.Lfunc_end0:
	.size	fft_rtc_back_len121_factors_11_11_wgs_121_tpt_11_sp_op_CI_CI_sbrc_z_xy_diag, .Lfunc_end0-fft_rtc_back_len121_factors_11_11_wgs_121_tpt_11_sp_op_CI_CI_sbrc_z_xy_diag
                                        ; -- End function
	.section	.AMDGPU.csdata,"",@progbits
; Kernel info:
; codeLenInByte = 5080
; NumSgprs: 46
; NumVgprs: 114
; NumAgprs: 0
; TotalNumVgprs: 114
; ScratchSize: 0
; MemoryBound: 0
; FloatMode: 240
; IeeeMode: 1
; LDSByteSize: 0 bytes/workgroup (compile time only)
; SGPRBlocks: 5
; VGPRBlocks: 14
; NumSGPRsForWavesPerEU: 46
; NumVGPRsForWavesPerEU: 114
; AccumOffset: 116
; Occupancy: 4
; WaveLimiterHint : 1
; COMPUTE_PGM_RSRC2:SCRATCH_EN: 0
; COMPUTE_PGM_RSRC2:USER_SGPR: 2
; COMPUTE_PGM_RSRC2:TRAP_HANDLER: 0
; COMPUTE_PGM_RSRC2:TGID_X_EN: 1
; COMPUTE_PGM_RSRC2:TGID_Y_EN: 0
; COMPUTE_PGM_RSRC2:TGID_Z_EN: 0
; COMPUTE_PGM_RSRC2:TIDIG_COMP_CNT: 0
; COMPUTE_PGM_RSRC3_GFX90A:ACCUM_OFFSET: 28
; COMPUTE_PGM_RSRC3_GFX90A:TG_SPLIT: 0
	.text
	.p2alignl 6, 3212836864
	.fill 256, 4, 3212836864
	.type	__hip_cuid_aa569f436f15c1da,@object ; @__hip_cuid_aa569f436f15c1da
	.section	.bss,"aw",@nobits
	.globl	__hip_cuid_aa569f436f15c1da
__hip_cuid_aa569f436f15c1da:
	.byte	0                               ; 0x0
	.size	__hip_cuid_aa569f436f15c1da, 1

	.ident	"AMD clang version 19.0.0git (https://github.com/RadeonOpenCompute/llvm-project roc-6.4.0 25133 c7fe45cf4b819c5991fe208aaa96edf142730f1d)"
	.section	".note.GNU-stack","",@progbits
	.addrsig
	.addrsig_sym __hip_cuid_aa569f436f15c1da
	.amdgpu_metadata
---
amdhsa.kernels:
  - .agpr_count:     0
    .args:
      - .actual_access:  read_only
        .address_space:  global
        .offset:         0
        .size:           8
        .value_kind:     global_buffer
      - .offset:         8
        .size:           8
        .value_kind:     by_value
      - .actual_access:  read_only
        .address_space:  global
        .offset:         16
        .size:           8
        .value_kind:     global_buffer
      - .actual_access:  read_only
        .address_space:  global
        .offset:         24
        .size:           8
        .value_kind:     global_buffer
      - .actual_access:  read_only
        .address_space:  global
        .offset:         32
        .size:           8
        .value_kind:     global_buffer
      - .offset:         40
        .size:           8
        .value_kind:     by_value
      - .actual_access:  read_only
        .address_space:  global
        .offset:         48
        .size:           8
        .value_kind:     global_buffer
      - .actual_access:  read_only
        .address_space:  global
        .offset:         56
        .size:           8
        .value_kind:     global_buffer
      - .offset:         64
        .size:           4
        .value_kind:     by_value
      - .actual_access:  read_only
        .address_space:  global
        .offset:         72
        .size:           8
        .value_kind:     global_buffer
      - .actual_access:  read_only
        .address_space:  global
        .offset:         80
        .size:           8
        .value_kind:     global_buffer
      - .actual_access:  read_only
        .address_space:  global
        .offset:         88
        .size:           8
        .value_kind:     global_buffer
      - .actual_access:  write_only
        .address_space:  global
        .offset:         96
        .size:           8
        .value_kind:     global_buffer
    .group_segment_fixed_size: 0
    .kernarg_segment_align: 8
    .kernarg_segment_size: 104
    .language:       OpenCL C
    .language_version:
      - 2
      - 0
    .max_flat_workgroup_size: 121
    .name:           fft_rtc_back_len121_factors_11_11_wgs_121_tpt_11_sp_op_CI_CI_sbrc_z_xy_diag
    .private_segment_fixed_size: 0
    .sgpr_count:     46
    .sgpr_spill_count: 0
    .symbol:         fft_rtc_back_len121_factors_11_11_wgs_121_tpt_11_sp_op_CI_CI_sbrc_z_xy_diag.kd
    .uniform_work_group_size: 1
    .uses_dynamic_stack: false
    .vgpr_count:     114
    .vgpr_spill_count: 0
    .wavefront_size: 64
amdhsa.target:   amdgcn-amd-amdhsa--gfx950
amdhsa.version:
  - 1
  - 2
...

	.end_amdgpu_metadata
